;; amdgpu-corpus repo=ROCm/rocFFT kind=compiled arch=gfx1201 opt=O3
	.text
	.amdgcn_target "amdgcn-amd-amdhsa--gfx1201"
	.amdhsa_code_object_version 6
	.protected	fft_rtc_back_len128_factors_16_8_wgs_256_tpt_16_halfLds_sp_ip_CI_unitstride_sbrr_R2C_dirReg ; -- Begin function fft_rtc_back_len128_factors_16_8_wgs_256_tpt_16_halfLds_sp_ip_CI_unitstride_sbrr_R2C_dirReg
	.globl	fft_rtc_back_len128_factors_16_8_wgs_256_tpt_16_halfLds_sp_ip_CI_unitstride_sbrr_R2C_dirReg
	.p2align	8
	.type	fft_rtc_back_len128_factors_16_8_wgs_256_tpt_16_halfLds_sp_ip_CI_unitstride_sbrr_R2C_dirReg,@function
fft_rtc_back_len128_factors_16_8_wgs_256_tpt_16_halfLds_sp_ip_CI_unitstride_sbrr_R2C_dirReg: ; @fft_rtc_back_len128_factors_16_8_wgs_256_tpt_16_halfLds_sp_ip_CI_unitstride_sbrr_R2C_dirReg
; %bb.0:
	s_clause 0x2
	s_load_b128 s[4:7], s[0:1], 0x0
	s_load_b64 s[8:9], s[0:1], 0x50
	s_load_b64 s[10:11], s[0:1], 0x18
	v_lshrrev_b32_e32 v9, 4, v0
	v_mov_b32_e32 v3, 0
	v_mov_b32_e32 v1, 0
	;; [unrolled: 1-line block ×3, first 2 shown]
	s_delay_alu instid0(VALU_DEP_4) | instskip(NEXT) | instid1(VALU_DEP_4)
	v_lshl_or_b32 v5, ttmp9, 4, v9
	v_mov_b32_e32 v6, v3
	s_wait_kmcnt 0x0
	v_cmp_lt_u64_e64 s2, s[6:7], 2
	s_delay_alu instid0(VALU_DEP_1)
	s_and_b32 vcc_lo, exec_lo, s2
	s_cbranch_vccnz .LBB0_8
; %bb.1:
	s_load_b64 s[2:3], s[0:1], 0x10
	v_mov_b32_e32 v1, 0
	v_mov_b32_e32 v2, 0
	s_add_nc_u64 s[12:13], s[10:11], 8
	s_mov_b64 s[14:15], 1
	s_wait_kmcnt 0x0
	s_add_nc_u64 s[16:17], s[2:3], 8
	s_mov_b32 s3, 0
.LBB0_2:                                ; =>This Inner Loop Header: Depth=1
	s_load_b64 s[18:19], s[16:17], 0x0
                                        ; implicit-def: $vgpr7_vgpr8
	s_mov_b32 s2, exec_lo
	s_wait_kmcnt 0x0
	v_or_b32_e32 v4, s19, v6
	s_delay_alu instid0(VALU_DEP_1)
	v_cmpx_ne_u64_e32 0, v[3:4]
	s_wait_alu 0xfffe
	s_xor_b32 s20, exec_lo, s2
	s_cbranch_execz .LBB0_4
; %bb.3:                                ;   in Loop: Header=BB0_2 Depth=1
	s_cvt_f32_u32 s2, s18
	s_cvt_f32_u32 s21, s19
	s_sub_nc_u64 s[24:25], 0, s[18:19]
	s_wait_alu 0xfffe
	s_delay_alu instid0(SALU_CYCLE_1) | instskip(SKIP_1) | instid1(SALU_CYCLE_2)
	s_fmamk_f32 s2, s21, 0x4f800000, s2
	s_wait_alu 0xfffe
	v_s_rcp_f32 s2, s2
	s_delay_alu instid0(TRANS32_DEP_1) | instskip(SKIP_1) | instid1(SALU_CYCLE_2)
	s_mul_f32 s2, s2, 0x5f7ffffc
	s_wait_alu 0xfffe
	s_mul_f32 s21, s2, 0x2f800000
	s_wait_alu 0xfffe
	s_delay_alu instid0(SALU_CYCLE_2) | instskip(SKIP_1) | instid1(SALU_CYCLE_2)
	s_trunc_f32 s21, s21
	s_wait_alu 0xfffe
	s_fmamk_f32 s2, s21, 0xcf800000, s2
	s_cvt_u32_f32 s23, s21
	s_wait_alu 0xfffe
	s_delay_alu instid0(SALU_CYCLE_1) | instskip(SKIP_1) | instid1(SALU_CYCLE_2)
	s_cvt_u32_f32 s22, s2
	s_wait_alu 0xfffe
	s_mul_u64 s[26:27], s[24:25], s[22:23]
	s_wait_alu 0xfffe
	s_mul_hi_u32 s29, s22, s27
	s_mul_i32 s28, s22, s27
	s_mul_hi_u32 s2, s22, s26
	s_mul_i32 s30, s23, s26
	s_wait_alu 0xfffe
	s_add_nc_u64 s[28:29], s[2:3], s[28:29]
	s_mul_hi_u32 s21, s23, s26
	s_mul_hi_u32 s31, s23, s27
	s_add_co_u32 s2, s28, s30
	s_wait_alu 0xfffe
	s_add_co_ci_u32 s2, s29, s21
	s_mul_i32 s26, s23, s27
	s_add_co_ci_u32 s27, s31, 0
	s_wait_alu 0xfffe
	s_add_nc_u64 s[26:27], s[2:3], s[26:27]
	s_wait_alu 0xfffe
	v_add_co_u32 v4, s2, s22, s26
	s_delay_alu instid0(VALU_DEP_1) | instskip(SKIP_1) | instid1(VALU_DEP_1)
	s_cmp_lg_u32 s2, 0
	s_add_co_ci_u32 s23, s23, s27
	v_readfirstlane_b32 s22, v4
	s_wait_alu 0xfffe
	s_delay_alu instid0(VALU_DEP_1)
	s_mul_u64 s[24:25], s[24:25], s[22:23]
	s_wait_alu 0xfffe
	s_mul_hi_u32 s27, s22, s25
	s_mul_i32 s26, s22, s25
	s_mul_hi_u32 s2, s22, s24
	s_mul_i32 s28, s23, s24
	s_wait_alu 0xfffe
	s_add_nc_u64 s[26:27], s[2:3], s[26:27]
	s_mul_hi_u32 s21, s23, s24
	s_mul_hi_u32 s22, s23, s25
	s_wait_alu 0xfffe
	s_add_co_u32 s2, s26, s28
	s_add_co_ci_u32 s2, s27, s21
	s_mul_i32 s24, s23, s25
	s_add_co_ci_u32 s25, s22, 0
	s_wait_alu 0xfffe
	s_add_nc_u64 s[24:25], s[2:3], s[24:25]
	s_wait_alu 0xfffe
	v_add_co_u32 v4, s2, v4, s24
	s_delay_alu instid0(VALU_DEP_1) | instskip(SKIP_1) | instid1(VALU_DEP_1)
	s_cmp_lg_u32 s2, 0
	s_add_co_ci_u32 s2, s23, s25
	v_mul_hi_u32 v14, v5, v4
	s_wait_alu 0xfffe
	v_mad_co_u64_u32 v[7:8], null, v5, s2, 0
	v_mad_co_u64_u32 v[10:11], null, v6, v4, 0
	;; [unrolled: 1-line block ×3, first 2 shown]
	s_delay_alu instid0(VALU_DEP_3) | instskip(SKIP_1) | instid1(VALU_DEP_4)
	v_add_co_u32 v4, vcc_lo, v14, v7
	s_wait_alu 0xfffd
	v_add_co_ci_u32_e32 v7, vcc_lo, 0, v8, vcc_lo
	s_delay_alu instid0(VALU_DEP_2) | instskip(SKIP_1) | instid1(VALU_DEP_2)
	v_add_co_u32 v4, vcc_lo, v4, v10
	s_wait_alu 0xfffd
	v_add_co_ci_u32_e32 v4, vcc_lo, v7, v11, vcc_lo
	s_wait_alu 0xfffd
	v_add_co_ci_u32_e32 v7, vcc_lo, 0, v13, vcc_lo
	s_delay_alu instid0(VALU_DEP_2) | instskip(SKIP_1) | instid1(VALU_DEP_2)
	v_add_co_u32 v4, vcc_lo, v4, v12
	s_wait_alu 0xfffd
	v_add_co_ci_u32_e32 v10, vcc_lo, 0, v7, vcc_lo
	s_delay_alu instid0(VALU_DEP_2) | instskip(SKIP_1) | instid1(VALU_DEP_3)
	v_mul_lo_u32 v11, s19, v4
	v_mad_co_u64_u32 v[7:8], null, s18, v4, 0
	v_mul_lo_u32 v12, s18, v10
	s_delay_alu instid0(VALU_DEP_2) | instskip(NEXT) | instid1(VALU_DEP_2)
	v_sub_co_u32 v7, vcc_lo, v5, v7
	v_add3_u32 v8, v8, v12, v11
	s_delay_alu instid0(VALU_DEP_1) | instskip(SKIP_1) | instid1(VALU_DEP_1)
	v_sub_nc_u32_e32 v11, v6, v8
	s_wait_alu 0xfffd
	v_subrev_co_ci_u32_e64 v11, s2, s19, v11, vcc_lo
	v_add_co_u32 v12, s2, v4, 2
	s_wait_alu 0xf1ff
	v_add_co_ci_u32_e64 v13, s2, 0, v10, s2
	v_sub_co_u32 v14, s2, v7, s18
	v_sub_co_ci_u32_e32 v8, vcc_lo, v6, v8, vcc_lo
	s_wait_alu 0xf1ff
	v_subrev_co_ci_u32_e64 v11, s2, 0, v11, s2
	s_delay_alu instid0(VALU_DEP_3) | instskip(NEXT) | instid1(VALU_DEP_3)
	v_cmp_le_u32_e32 vcc_lo, s18, v14
	v_cmp_eq_u32_e64 s2, s19, v8
	s_wait_alu 0xfffd
	v_cndmask_b32_e64 v14, 0, -1, vcc_lo
	v_cmp_le_u32_e32 vcc_lo, s19, v11
	s_wait_alu 0xfffd
	v_cndmask_b32_e64 v15, 0, -1, vcc_lo
	v_cmp_le_u32_e32 vcc_lo, s18, v7
	;; [unrolled: 3-line block ×3, first 2 shown]
	s_wait_alu 0xfffd
	v_cndmask_b32_e64 v16, 0, -1, vcc_lo
	v_cmp_eq_u32_e32 vcc_lo, s19, v11
	s_wait_alu 0xf1ff
	s_delay_alu instid0(VALU_DEP_2)
	v_cndmask_b32_e64 v7, v16, v7, s2
	s_wait_alu 0xfffd
	v_cndmask_b32_e32 v11, v15, v14, vcc_lo
	v_add_co_u32 v14, vcc_lo, v4, 1
	s_wait_alu 0xfffd
	v_add_co_ci_u32_e32 v15, vcc_lo, 0, v10, vcc_lo
	s_delay_alu instid0(VALU_DEP_3) | instskip(SKIP_1) | instid1(VALU_DEP_2)
	v_cmp_ne_u32_e32 vcc_lo, 0, v11
	s_wait_alu 0xfffd
	v_dual_cndmask_b32 v8, v15, v13 :: v_dual_cndmask_b32 v11, v14, v12
	v_cmp_ne_u32_e32 vcc_lo, 0, v7
	s_wait_alu 0xfffd
	s_delay_alu instid0(VALU_DEP_2)
	v_dual_cndmask_b32 v8, v10, v8 :: v_dual_cndmask_b32 v7, v4, v11
.LBB0_4:                                ;   in Loop: Header=BB0_2 Depth=1
	s_wait_alu 0xfffe
	s_and_not1_saveexec_b32 s2, s20
	s_cbranch_execz .LBB0_6
; %bb.5:                                ;   in Loop: Header=BB0_2 Depth=1
	v_cvt_f32_u32_e32 v4, s18
	s_sub_co_i32 s20, 0, s18
	s_delay_alu instid0(VALU_DEP_1) | instskip(NEXT) | instid1(TRANS32_DEP_1)
	v_rcp_iflag_f32_e32 v4, v4
	v_mul_f32_e32 v4, 0x4f7ffffe, v4
	s_delay_alu instid0(VALU_DEP_1) | instskip(SKIP_1) | instid1(VALU_DEP_1)
	v_cvt_u32_f32_e32 v4, v4
	s_wait_alu 0xfffe
	v_mul_lo_u32 v7, s20, v4
	s_delay_alu instid0(VALU_DEP_1) | instskip(NEXT) | instid1(VALU_DEP_1)
	v_mul_hi_u32 v7, v4, v7
	v_add_nc_u32_e32 v4, v4, v7
	s_delay_alu instid0(VALU_DEP_1) | instskip(NEXT) | instid1(VALU_DEP_1)
	v_mul_hi_u32 v4, v5, v4
	v_mul_lo_u32 v7, v4, s18
	v_add_nc_u32_e32 v8, 1, v4
	s_delay_alu instid0(VALU_DEP_2) | instskip(NEXT) | instid1(VALU_DEP_1)
	v_sub_nc_u32_e32 v7, v5, v7
	v_subrev_nc_u32_e32 v10, s18, v7
	v_cmp_le_u32_e32 vcc_lo, s18, v7
	s_wait_alu 0xfffd
	s_delay_alu instid0(VALU_DEP_2) | instskip(NEXT) | instid1(VALU_DEP_1)
	v_dual_cndmask_b32 v7, v7, v10 :: v_dual_cndmask_b32 v4, v4, v8
	v_cmp_le_u32_e32 vcc_lo, s18, v7
	s_delay_alu instid0(VALU_DEP_2) | instskip(SKIP_1) | instid1(VALU_DEP_1)
	v_add_nc_u32_e32 v8, 1, v4
	s_wait_alu 0xfffd
	v_dual_cndmask_b32 v7, v4, v8 :: v_dual_mov_b32 v8, v3
.LBB0_6:                                ;   in Loop: Header=BB0_2 Depth=1
	s_wait_alu 0xfffe
	s_or_b32 exec_lo, exec_lo, s2
	s_load_b64 s[20:21], s[12:13], 0x0
	s_delay_alu instid0(VALU_DEP_1)
	v_mul_lo_u32 v4, v8, s18
	v_mul_lo_u32 v12, v7, s19
	v_mad_co_u64_u32 v[10:11], null, v7, s18, 0
	s_add_nc_u64 s[14:15], s[14:15], 1
	s_add_nc_u64 s[12:13], s[12:13], 8
	s_wait_alu 0xfffe
	v_cmp_ge_u64_e64 s2, s[14:15], s[6:7]
	s_add_nc_u64 s[16:17], s[16:17], 8
	s_delay_alu instid0(VALU_DEP_2) | instskip(NEXT) | instid1(VALU_DEP_3)
	v_add3_u32 v4, v11, v12, v4
	v_sub_co_u32 v5, vcc_lo, v5, v10
	s_wait_alu 0xfffd
	s_delay_alu instid0(VALU_DEP_2) | instskip(SKIP_3) | instid1(VALU_DEP_2)
	v_sub_co_ci_u32_e32 v4, vcc_lo, v6, v4, vcc_lo
	s_and_b32 vcc_lo, exec_lo, s2
	s_wait_kmcnt 0x0
	v_mul_lo_u32 v6, s21, v5
	v_mul_lo_u32 v4, s20, v4
	v_mad_co_u64_u32 v[1:2], null, s20, v5, v[1:2]
	s_delay_alu instid0(VALU_DEP_1)
	v_add3_u32 v2, v6, v2, v4
	s_wait_alu 0xfffe
	s_cbranch_vccnz .LBB0_9
; %bb.7:                                ;   in Loop: Header=BB0_2 Depth=1
	v_dual_mov_b32 v5, v7 :: v_dual_mov_b32 v6, v8
	s_branch .LBB0_2
.LBB0_8:
	v_dual_mov_b32 v8, v6 :: v_dual_mov_b32 v7, v5
.LBB0_9:
	s_lshl_b64 s[2:3], s[6:7], 3
	v_and_b32_e32 v28, 15, v0
	s_wait_alu 0xfffe
	s_add_nc_u64 s[2:3], s[10:11], s[2:3]
	v_mul_u32_u24_e32 v0, 0x81, v9
	s_load_b64 s[2:3], s[2:3], 0x0
	s_load_b64 s[0:1], s[0:1], 0x20
	v_lshlrev_b32_e32 v29, 3, v28
	s_delay_alu instid0(VALU_DEP_2)
	v_lshlrev_b32_e32 v39, 3, v0
	s_wait_kmcnt 0x0
	v_mul_lo_u32 v3, s2, v8
	v_mul_lo_u32 v4, s3, v7
	v_mad_co_u64_u32 v[1:2], null, s2, v7, v[1:2]
	v_cmp_gt_u64_e32 vcc_lo, s[0:1], v[7:8]
	s_delay_alu instid0(VALU_DEP_2) | instskip(NEXT) | instid1(VALU_DEP_1)
	v_add3_u32 v2, v4, v2, v3
	v_lshlrev_b64_e32 v[30:31], 3, v[1:2]
	s_and_saveexec_b32 s1, vcc_lo
	s_cbranch_execz .LBB0_11
; %bb.10:
	s_delay_alu instid0(VALU_DEP_1) | instskip(SKIP_1) | instid1(VALU_DEP_2)
	v_add_co_u32 v0, s0, s8, v30
	s_wait_alu 0xf1ff
	v_add_co_ci_u32_e64 v1, s0, s9, v31, s0
	v_add3_u32 v16, 0, v39, v29
	s_delay_alu instid0(VALU_DEP_3) | instskip(SKIP_1) | instid1(VALU_DEP_3)
	v_add_co_u32 v0, s0, v0, v29
	s_wait_alu 0xf1ff
	v_add_co_ci_u32_e64 v1, s0, 0, v1, s0
	s_clause 0x7
	global_load_b64 v[2:3], v[0:1], off
	global_load_b64 v[4:5], v[0:1], off offset:128
	global_load_b64 v[6:7], v[0:1], off offset:256
	;; [unrolled: 1-line block ×7, first 2 shown]
	s_wait_loadcnt 0x6
	ds_store_2addr_b64 v16, v[2:3], v[4:5] offset1:16
	s_wait_loadcnt 0x4
	ds_store_2addr_b64 v16, v[6:7], v[8:9] offset0:32 offset1:48
	s_wait_loadcnt 0x2
	ds_store_2addr_b64 v16, v[10:11], v[12:13] offset0:64 offset1:80
	;; [unrolled: 2-line block ×3, first 2 shown]
.LBB0_11:
	s_wait_alu 0xfffe
	s_or_b32 exec_lo, exec_lo, s1
	v_add_nc_u32_e32 v37, 0, v39
	v_add3_u32 v38, 0, v29, v39
	global_wb scope:SCOPE_SE
	s_wait_dscnt 0x0
	s_barrier_signal -1
	s_barrier_wait -1
	global_inv scope:SCOPE_SE
	v_add_nc_u32_e32 v36, v37, v29
	ds_load_2addr_b64 v[4:7], v38 offset0:8 offset1:16
	ds_load_2addr_b64 v[0:3], v38 offset0:24 offset1:32
	ds_load_2addr_b64 v[8:11], v38 offset0:40 offset1:48
	ds_load_2addr_b64 v[12:15], v38 offset0:56 offset1:64
	ds_load_2addr_b64 v[20:23], v38 offset0:72 offset1:80
	ds_load_2addr_b64 v[16:19], v38 offset0:88 offset1:96
	ds_load_2addr_b64 v[24:27], v38 offset0:104 offset1:112
	ds_load_b64 v[32:33], v36
	ds_load_b64 v[34:35], v38 offset:960
	s_mov_b32 s1, exec_lo
	global_wb scope:SCOPE_SE
	s_wait_dscnt 0x0
	s_barrier_signal -1
	s_barrier_wait -1
	global_inv scope:SCOPE_SE
	v_cmpx_gt_u32_e32 8, v28
	s_cbranch_execz .LBB0_13
; %bb.12:
	v_dual_sub_f32 v23, v7, v23 :: v_dual_sub_f32 v26, v10, v26
	v_dual_sub_f32 v15, v33, v15 :: v_dual_sub_f32 v18, v2, v18
	;; [unrolled: 1-line block ×4, first 2 shown]
	s_delay_alu instid0(VALU_DEP_3) | instskip(SKIP_3) | instid1(VALU_DEP_3)
	v_sub_f32_e32 v41, v15, v18
	v_sub_f32_e32 v40, v23, v26
	v_dual_sub_f32 v27, v11, v27 :: v_dual_sub_f32 v22, v6, v22
	v_sub_f32_e32 v42, v17, v34
	v_dual_sub_f32 v43, v21, v24 :: v_dual_fmamk_f32 v44, v40, 0x3f3504f3, v41
	v_dual_sub_f32 v35, v13, v35 :: v_dual_sub_f32 v16, v0, v16
	v_dual_sub_f32 v25, v9, v25 :: v_dual_sub_f32 v20, v4, v20
	v_add_f32_e32 v45, v22, v27
	s_delay_alu instid0(VALU_DEP_3) | instskip(NEXT) | instid1(VALU_DEP_3)
	v_dual_fmamk_f32 v46, v42, 0x3f3504f3, v43 :: v_dual_add_f32 v47, v16, v35
	v_dual_sub_f32 v19, v3, v19 :: v_dual_add_f32 v48, v20, v25
	v_sub_f32_e32 v50, v32, v14
	s_delay_alu instid0(VALU_DEP_4) | instskip(SKIP_1) | instid1(VALU_DEP_4)
	v_fmac_f32_e32 v44, 0xbf3504f3, v45
	v_fma_f32 v10, v10, 2.0, -v26
	v_fma_f32 v3, v3, 2.0, -v19
	v_fmamk_f32 v49, v47, 0x3f3504f3, v48
	v_add_f32_e32 v51, v50, v19
	v_fma_f32 v19, v5, 2.0, -v21
	v_fma_f32 v5, v9, 2.0, -v25
	v_fma_f32 v9, v0, 2.0, -v16
	v_fma_f32 v0, v12, 2.0, -v34
	v_fmac_f32_e32 v46, 0xbf3504f3, v47
	v_fma_f32 v34, v1, 2.0, -v17
	v_sub_f32_e32 v25, v19, v5
	v_fma_f32 v1, v8, 2.0, -v24
	v_fma_f32 v5, v17, 2.0, -v42
	;; [unrolled: 1-line block ×3, first 2 shown]
	v_sub_f32_e32 v26, v9, v0
	v_fma_f32 v0, v13, 2.0, -v35
	v_fma_f32 v35, v4, 2.0, -v20
	v_fmamk_f32 v52, v45, 0x3f3504f3, v51
	v_fma_f32 v33, v33, 2.0, -v15
	v_fma_f32 v6, v6, 2.0, -v22
	s_delay_alu instid0(VALU_DEP_4) | instskip(NEXT) | instid1(VALU_DEP_4)
	v_dual_sub_f32 v54, v34, v0 :: v_dual_sub_f32 v55, v35, v1
	v_dual_fmac_f32 v49, 0x3f3504f3, v42 :: v_dual_fmac_f32 v52, 0x3f3504f3, v40
	v_fma_f32 v7, v7, 2.0, -v23
	v_fma_f32 v0, v11, 2.0, -v27
	v_sub_f32_e32 v10, v6, v10
	v_fma_f32 v32, v32, 2.0, -v50
	v_fmamk_f32 v13, v49, 0x3f6c835e, v52
	v_sub_f32_e32 v12, v33, v3
	v_fma_f32 v4, v22, 2.0, -v45
	v_sub_f32_e32 v8, v7, v0
	v_fma_f32 v0, v23, 2.0, -v40
	v_fma_f32 v11, v16, 2.0, -v47
	;; [unrolled: 1-line block ×4, first 2 shown]
	v_fmac_f32_e32 v13, 0x3ec3ef15, v46
	v_fma_f32 v56, v15, 2.0, -v41
	v_fma_f32 v21, v21, 2.0, -v43
	v_fmamk_f32 v47, v4, 0xbf3504f3, v23
	v_fmamk_f32 v45, v11, 0xbf3504f3, v17
	v_dual_fmamk_f32 v14, v46, 0x3f6c835e, v44 :: v_dual_sub_f32 v53, v25, v26
	v_sub_f32_e32 v24, v12, v10
	s_delay_alu instid0(VALU_DEP_4) | instskip(SKIP_2) | instid1(VALU_DEP_4)
	v_dual_sub_f32 v50, v32, v2 :: v_dual_fmac_f32 v47, 0x3f3504f3, v0
	v_fmamk_f32 v42, v5, 0xbf3504f3, v21
	v_fmac_f32_e32 v45, 0x3f3504f3, v5
	v_fmamk_f32 v3, v53, 0x3f3504f3, v24
	s_delay_alu instid0(VALU_DEP_4) | instskip(SKIP_4) | instid1(VALU_DEP_4)
	v_dual_add_f32 v57, v50, v8 :: v_dual_fmac_f32 v14, 0xbec3ef15, v49
	v_dual_add_f32 v27, v55, v54 :: v_dual_fmamk_f32 v40, v0, 0xbf3504f3, v56
	v_fma_f32 v33, v33, 2.0, -v12
	v_fma_f32 v7, v7, 2.0, -v8
	;; [unrolled: 1-line block ×3, first 2 shown]
	v_fmac_f32_e32 v3, 0xbf3504f3, v27
	v_fma_f32 v8, v9, 2.0, -v26
	v_fma_f32 v6, v6, 2.0, -v10
	;; [unrolled: 1-line block ×4, first 2 shown]
	s_delay_alu instid0(VALU_DEP_4) | instskip(SKIP_4) | instid1(VALU_DEP_4)
	v_dual_fmac_f32 v42, 0xbf3504f3, v11 :: v_dual_sub_f32 v59, v35, v8
	v_sub_f32_e32 v58, v33, v7
	v_fma_f32 v22, v41, 2.0, -v44
	v_fma_f32 v26, v43, 2.0, -v46
	v_dual_sub_f32 v43, v19, v10 :: v_dual_fmac_f32 v40, 0xbf3504f3, v4
	v_sub_f32_e32 v11, v58, v59
	v_fma_f32 v12, v12, 2.0, -v24
	v_fma_f32 v41, v25, 2.0, -v53
	;; [unrolled: 1-line block ×3, first 2 shown]
	v_dual_fmamk_f32 v5, v42, 0x3ec3ef15, v40 :: v_dual_fmamk_f32 v4, v45, 0x3ec3ef15, v47
	v_fma_f32 v32, v32, 2.0, -v50
	s_delay_alu instid0(VALU_DEP_4) | instskip(SKIP_1) | instid1(VALU_DEP_4)
	v_fmamk_f32 v18, v41, 0xbf3504f3, v12
	v_fmamk_f32 v16, v26, 0xbec3ef15, v22
	v_fmac_f32_e32 v5, 0xbf6c835e, v45
	v_fma_f32 v15, v48, 2.0, -v49
	v_sub_f32_e32 v6, v32, v6
	v_fma_f32 v34, v51, 2.0, -v52
	v_fmac_f32_e32 v18, 0xbf3504f3, v25
	v_fma_f32 v1, v44, 2.0, -v14
	v_fmac_f32_e32 v4, 0x3f6c835e, v42
	v_fma_f32 v7, v24, 2.0, -v3
	v_fma_f32 v9, v40, 2.0, -v5
	;; [unrolled: 1-line block ×6, first 2 shown]
	v_fmac_f32_e32 v16, 0xbf6c835e, v15
	v_dual_fmamk_f32 v15, v15, 0xbec3ef15, v34 :: v_dual_add_f32 v10, v6, v43
	v_fma_f32 v24, v12, 2.0, -v18
	v_fma_f32 v12, v33, 2.0, -v58
	;; [unrolled: 1-line block ×3, first 2 shown]
	v_fmamk_f32 v2, v27, 0x3f3504f3, v57
	v_fma_f32 v27, v50, 2.0, -v57
	v_fma_f32 v43, v32, 2.0, -v6
	;; [unrolled: 1-line block ×3, first 2 shown]
	v_sub_f32_e32 v33, v12, v19
	v_fmac_f32_e32 v15, 0x3f6c835e, v26
	v_fmamk_f32 v17, v25, 0xbf3504f3, v27
	v_fmamk_f32 v26, v42, 0xbf6c835e, v40
	v_dual_sub_f32 v32, v43, v32 :: v_dual_fmamk_f32 v25, v44, 0xbf6c835e, v23
	v_lshlrev_b32_e32 v19, 7, v28
	s_delay_alu instid0(VALU_DEP_4) | instskip(NEXT) | instid1(VALU_DEP_4)
	v_fmac_f32_e32 v17, 0x3f3504f3, v41
	v_fmac_f32_e32 v26, 0xbec3ef15, v44
	;; [unrolled: 1-line block ×4, first 2 shown]
	v_fma_f32 v21, v34, 2.0, -v15
	v_fma_f32 v41, v12, 2.0, -v33
	;; [unrolled: 1-line block ×5, first 2 shown]
	v_add3_u32 v12, 0, v19, v39
	v_fma_f32 v22, v22, 2.0, -v16
	v_fma_f32 v23, v27, 2.0, -v17
	;; [unrolled: 1-line block ×7, first 2 shown]
	ds_store_2addr_b64 v12, v[40:41], v[34:35] offset1:1
	ds_store_2addr_b64 v12, v[23:24], v[21:22] offset0:2 offset1:3
	ds_store_2addr_b64 v12, v[19:20], v[8:9] offset0:4 offset1:5
	;; [unrolled: 1-line block ×7, first 2 shown]
.LBB0_13:
	s_wait_alu 0xfffe
	s_or_b32 exec_lo, exec_lo, s1
	v_mul_u32_u24_e32 v0, 7, v28
	global_wb scope:SCOPE_SE
	s_wait_dscnt 0x0
	s_barrier_signal -1
	s_barrier_wait -1
	global_inv scope:SCOPE_SE
	v_lshlrev_b32_e32 v12, 3, v0
	v_cmp_ne_u32_e64 s0, 0, v28
	s_clause 0x3
	global_load_b128 v[0:3], v12, s[4:5]
	global_load_b128 v[4:7], v12, s[4:5] offset:16
	global_load_b128 v[8:11], v12, s[4:5] offset:32
	global_load_b64 v[20:21], v12, s[4:5] offset:48
	ds_load_2addr_b64 v[12:15], v38 offset0:16 offset1:32
	ds_load_2addr_b64 v[16:19], v38 offset0:48 offset1:64
	ds_load_b64 v[22:23], v38 offset:640
	ds_load_2addr_b32 v[24:25], v38 offset0:192 offset1:193
	ds_load_b64 v[26:27], v38 offset:896
	ds_load_b64 v[32:33], v36
	global_wb scope:SCOPE_SE
	s_wait_loadcnt_dscnt 0x0
	s_barrier_signal -1
	s_barrier_wait -1
	global_inv scope:SCOPE_SE
	v_dual_mul_f32 v35, v3, v15 :: v_dual_mul_f32 v34, v1, v13
	v_mul_f32_e32 v3, v3, v14
	v_dual_mul_f32 v1, v1, v12 :: v_dual_mul_f32 v40, v7, v19
	v_dual_mul_f32 v7, v7, v18 :: v_dual_mul_f32 v42, v25, v11
	v_mul_f32_e32 v41, v9, v23
	v_dual_mul_f32 v39, v5, v17 :: v_dual_fmac_f32 v34, v0, v12
	s_delay_alu instid0(VALU_DEP_4)
	v_dual_mul_f32 v5, v5, v16 :: v_dual_fmac_f32 v40, v6, v18
	v_fma_f32 v0, v0, v13, -v1
	v_dual_mul_f32 v9, v9, v22 :: v_dual_fmac_f32 v42, v10, v24
	v_fmac_f32_e32 v41, v8, v22
	v_fma_f32 v1, v2, v15, -v3
	v_fma_f32 v3, v6, v19, -v7
	v_sub_f32_e32 v7, v32, v40
	v_fmac_f32_e32 v39, v4, v16
	v_fmac_f32_e32 v35, v2, v14
	v_fma_f32 v2, v4, v17, -v5
	v_fma_f32 v4, v8, v23, -v9
	v_sub_f32_e32 v9, v34, v41
	v_mul_f32_e32 v43, v27, v21
	v_dual_mul_f32 v21, v26, v21 :: v_dual_sub_f32 v8, v35, v42
	s_delay_alu instid0(VALU_DEP_4) | instskip(NEXT) | instid1(VALU_DEP_4)
	v_sub_f32_e32 v4, v0, v4
	v_fma_f32 v14, v34, 2.0, -v9
	s_delay_alu instid0(VALU_DEP_3) | instskip(SKIP_1) | instid1(VALU_DEP_4)
	v_fma_f32 v6, v27, v20, -v21
	v_mul_f32_e32 v11, v11, v24
	v_fma_f32 v15, v0, 2.0, -v4
	s_delay_alu instid0(VALU_DEP_3) | instskip(NEXT) | instid1(VALU_DEP_3)
	v_sub_f32_e32 v6, v2, v6
	v_fma_f32 v5, v25, v10, -v11
	s_delay_alu instid0(VALU_DEP_2) | instskip(NEXT) | instid1(VALU_DEP_2)
	v_fma_f32 v2, v2, 2.0, -v6
	v_sub_f32_e32 v5, v1, v5
	v_dual_add_f32 v6, v9, v6 :: v_dual_fmac_f32 v43, v26, v20
	s_delay_alu instid0(VALU_DEP_2) | instskip(SKIP_1) | instid1(VALU_DEP_3)
	v_add_f32_e32 v16, v7, v5
	v_fma_f32 v1, v1, 2.0, -v5
	v_sub_f32_e32 v10, v39, v43
	v_fma_f32 v13, v35, 2.0, -v8
	v_fma_f32 v9, v9, 2.0, -v6
	s_delay_alu instid0(VALU_DEP_3) | instskip(NEXT) | instid1(VALU_DEP_1)
	v_fma_f32 v0, v39, 2.0, -v10
	v_sub_f32_e32 v5, v14, v0
	v_dual_fmamk_f32 v0, v6, 0x3f3504f3, v16 :: v_dual_sub_f32 v3, v33, v3
	v_fma_f32 v18, v7, 2.0, -v16
	v_fma_f32 v11, v32, 2.0, -v7
	v_sub_f32_e32 v7, v15, v2
	s_delay_alu instid0(VALU_DEP_3) | instskip(SKIP_1) | instid1(VALU_DEP_4)
	v_dual_sub_f32 v17, v3, v8 :: v_dual_fmamk_f32 v2, v9, 0xbf3504f3, v18
	v_sub_f32_e32 v8, v4, v10
	v_sub_f32_e32 v10, v11, v13
	s_delay_alu instid0(VALU_DEP_2)
	v_fmac_f32_e32 v0, 0x3f3504f3, v8
	v_fma_f32 v12, v33, 2.0, -v3
	v_fma_f32 v19, v3, 2.0, -v17
	;; [unrolled: 1-line block ×5, first 2 shown]
	v_sub_f32_e32 v13, v12, v1
	s_delay_alu instid0(VALU_DEP_4) | instskip(SKIP_1) | instid1(VALU_DEP_3)
	v_dual_fmamk_f32 v1, v8, 0x3f3504f3, v17 :: v_dual_fmac_f32 v2, 0x3f3504f3, v20
	v_dual_fmamk_f32 v3, v20, 0xbf3504f3, v19 :: v_dual_add_f32 v4, v10, v7
	v_fma_f32 v22, v12, 2.0, -v13
	v_fma_f32 v12, v15, 2.0, -v7
	v_sub_f32_e32 v5, v13, v5
	v_dual_fmac_f32 v1, 0xbf3504f3, v6 :: v_dual_sub_f32 v6, v21, v11
	v_fmac_f32_e32 v3, 0xbf3504f3, v9
	s_delay_alu instid0(VALU_DEP_4)
	v_sub_f32_e32 v7, v22, v12
	v_fma_f32 v8, v10, 2.0, -v4
	v_fma_f32 v9, v13, 2.0, -v5
	;; [unrolled: 1-line block ×8, first 2 shown]
	ds_store_2addr_b64 v38, v[4:5], v[0:1] offset0:96 offset1:112
	ds_store_2addr_b64 v38, v[8:9], v[10:11] offset0:32 offset1:48
	ds_store_2addr_b64 v38, v[6:7], v[2:3] offset0:64 offset1:80
	ds_store_2addr_b64 v38, v[12:13], v[14:15] offset1:16
	global_wb scope:SCOPE_SE
	s_wait_dscnt 0x0
	s_barrier_signal -1
	s_barrier_wait -1
	global_inv scope:SCOPE_SE
	ds_load_b64 v[0:1], v36
	v_sub_nc_u32_e32 v4, v37, v29
                                        ; implicit-def: $vgpr6
                                        ; implicit-def: $vgpr5
                                        ; implicit-def: $vgpr2_vgpr3
	s_and_saveexec_b32 s1, s0
	s_wait_alu 0xfffe
	s_xor_b32 s0, exec_lo, s1
	s_cbranch_execz .LBB0_15
; %bb.14:
	global_load_b64 v[2:3], v29, s[4:5] offset:896
	ds_load_b64 v[5:6], v4 offset:1024
	v_mov_b32_e32 v29, 0
                                        ; implicit-def: $vgpr37
	s_wait_dscnt 0x0
	v_dual_sub_f32 v7, v0, v5 :: v_dual_add_f32 v0, v5, v0
	v_dual_add_f32 v8, v6, v1 :: v_dual_sub_f32 v1, v1, v6
	s_delay_alu instid0(VALU_DEP_1) | instskip(SKIP_1) | instid1(VALU_DEP_1)
	v_dual_mul_f32 v6, 0.5, v7 :: v_dual_mul_f32 v7, 0.5, v8
	s_wait_loadcnt 0x0
	v_dual_mul_f32 v1, 0.5, v1 :: v_dual_mul_f32 v8, v3, v6
	s_delay_alu instid0(VALU_DEP_1) | instskip(SKIP_1) | instid1(VALU_DEP_3)
	v_fma_f32 v9, v7, v3, v1
	v_fma_f32 v1, v7, v3, -v1
	v_fma_f32 v5, 0.5, v0, v8
	v_fma_f32 v0, v0, 0.5, -v8
	s_delay_alu instid0(VALU_DEP_4) | instskip(NEXT) | instid1(VALU_DEP_4)
	v_fma_f32 v8, -v2, v6, v9
	v_fma_f32 v1, -v2, v6, v1
	ds_store_b32 v36, v8 offset:4
	ds_store_b32 v4, v1 offset:1028
	v_fmac_f32_e32 v5, v2, v7
	v_fma_f32 v6, -v2, v7, v0
	v_dual_mov_b32 v2, v28 :: v_dual_mov_b32 v3, v29
                                        ; implicit-def: $vgpr0_vgpr1
.LBB0_15:
	s_wait_alu 0xfffe
	s_and_not1_saveexec_b32 s0, s0
	s_cbranch_execz .LBB0_17
; %bb.16:
	s_wait_dscnt 0x0
	v_dual_mov_b32 v2, 0 :: v_dual_add_f32 v5, v0, v1
	ds_store_b32 v36, v2 offset:4
	ds_store_b32 v4, v2 offset:1028
	ds_load_b32 v2, v37 offset:516
	v_sub_f32_e32 v6, v0, v1
	s_wait_dscnt 0x0
	v_xor_b32_e32 v7, 0x80000000, v2
	v_mov_b32_e32 v2, 0
	v_mov_b32_e32 v3, 0
	ds_store_b32 v37, v7 offset:516
.LBB0_17:
	s_wait_alu 0xfffe
	s_or_b32 exec_lo, exec_lo, s0
	s_wait_dscnt 0x0
	v_lshlrev_b64_e32 v[0:1], 3, v[2:3]
	s_add_nc_u64 s[0:1], s[4:5], 0x380
	s_wait_alu 0xfffe
	s_delay_alu instid0(VALU_DEP_1) | instskip(SKIP_1) | instid1(VALU_DEP_2)
	v_add_co_u32 v2, s0, s0, v0
	s_wait_alu 0xf1ff
	v_add_co_ci_u32_e64 v3, s0, s1, v1, s0
	s_clause 0x2
	global_load_b64 v[7:8], v[2:3], off offset:128
	global_load_b64 v[9:10], v[2:3], off offset:256
	;; [unrolled: 1-line block ×3, first 2 shown]
	ds_store_b32 v36, v5
	ds_store_b32 v4, v6 offset:1024
	ds_load_b64 v[5:6], v36 offset:128
	ds_load_b64 v[11:12], v4 offset:896
	s_wait_dscnt 0x0
	v_dual_sub_f32 v13, v5, v11 :: v_dual_add_f32 v14, v6, v12
	v_dual_sub_f32 v6, v6, v12 :: v_dual_add_f32 v5, v5, v11
	s_delay_alu instid0(VALU_DEP_2) | instskip(SKIP_1) | instid1(VALU_DEP_1)
	v_dual_mul_f32 v12, 0.5, v13 :: v_dual_mul_f32 v13, 0.5, v14
	s_wait_loadcnt 0x2
	v_dual_mul_f32 v6, 0.5, v6 :: v_dual_mul_f32 v11, v8, v12
	s_delay_alu instid0(VALU_DEP_1) | instskip(SKIP_1) | instid1(VALU_DEP_3)
	v_fma_f32 v14, v13, v8, v6
	v_fma_f32 v6, v13, v8, -v6
	v_fma_f32 v8, 0.5, v5, v11
	v_fma_f32 v5, v5, 0.5, -v11
	s_delay_alu instid0(VALU_DEP_4) | instskip(NEXT) | instid1(VALU_DEP_4)
	v_fma_f32 v11, -v7, v12, v14
	v_fma_f32 v6, -v7, v12, v6
	s_delay_alu instid0(VALU_DEP_4) | instskip(NEXT) | instid1(VALU_DEP_4)
	v_fmac_f32_e32 v8, v7, v13
	v_fma_f32 v5, -v7, v13, v5
	ds_store_2addr_b32 v36, v8, v11 offset0:32 offset1:33
	ds_store_b64 v4, v[5:6] offset:896
	ds_load_b64 v[5:6], v36 offset:256
	ds_load_b64 v[7:8], v4 offset:768
	s_wait_dscnt 0x0
	v_dual_sub_f32 v11, v5, v7 :: v_dual_add_f32 v12, v6, v8
	v_dual_add_f32 v5, v5, v7 :: v_dual_sub_f32 v6, v6, v8
	s_delay_alu instid0(VALU_DEP_2) | instskip(SKIP_1) | instid1(VALU_DEP_1)
	v_dual_mul_f32 v8, 0.5, v11 :: v_dual_mul_f32 v11, 0.5, v12
	s_wait_loadcnt 0x1
	v_dual_mul_f32 v6, 0.5, v6 :: v_dual_mul_f32 v7, v10, v8
	s_delay_alu instid0(VALU_DEP_1) | instskip(SKIP_1) | instid1(VALU_DEP_3)
	v_fma_f32 v12, v11, v10, v6
	v_fma_f32 v6, v11, v10, -v6
	v_fma_f32 v10, 0.5, v5, v7
	v_fma_f32 v5, v5, 0.5, -v7
	s_delay_alu instid0(VALU_DEP_4) | instskip(NEXT) | instid1(VALU_DEP_4)
	v_fma_f32 v7, -v9, v8, v12
	v_fma_f32 v6, -v9, v8, v6
	s_delay_alu instid0(VALU_DEP_4) | instskip(NEXT) | instid1(VALU_DEP_4)
	v_fmac_f32_e32 v10, v9, v11
	v_fma_f32 v5, -v9, v11, v5
	ds_store_2addr_b32 v36, v10, v7 offset0:64 offset1:65
	ds_store_b64 v4, v[5:6] offset:768
	ds_load_b64 v[5:6], v36 offset:384
	ds_load_b64 v[7:8], v4 offset:640
	s_wait_dscnt 0x0
	v_dual_sub_f32 v9, v5, v7 :: v_dual_add_f32 v10, v6, v8
	v_dual_add_f32 v5, v5, v7 :: v_dual_sub_f32 v6, v6, v8
	s_delay_alu instid0(VALU_DEP_2) | instskip(SKIP_1) | instid1(VALU_DEP_1)
	v_dual_mul_f32 v8, 0.5, v9 :: v_dual_mul_f32 v9, 0.5, v10
	s_wait_loadcnt 0x0
	v_dual_mul_f32 v6, 0.5, v6 :: v_dual_mul_f32 v7, v3, v8
	s_delay_alu instid0(VALU_DEP_1) | instskip(SKIP_1) | instid1(VALU_DEP_3)
	v_fma_f32 v10, v9, v3, v6
	v_fma_f32 v3, v9, v3, -v6
	v_fma_f32 v6, 0.5, v5, v7
	v_fma_f32 v5, v5, 0.5, -v7
	s_delay_alu instid0(VALU_DEP_4) | instskip(NEXT) | instid1(VALU_DEP_4)
	v_fma_f32 v7, -v2, v8, v10
	v_fma_f32 v3, -v2, v8, v3
	s_delay_alu instid0(VALU_DEP_4) | instskip(NEXT) | instid1(VALU_DEP_4)
	v_fmac_f32_e32 v6, v2, v9
	v_fma_f32 v2, -v2, v9, v5
	ds_store_2addr_b32 v36, v6, v7 offset0:96 offset1:97
	ds_store_b64 v4, v[2:3] offset:640
	global_wb scope:SCOPE_SE
	s_wait_dscnt 0x0
	s_barrier_signal -1
	s_barrier_wait -1
	global_inv scope:SCOPE_SE
	s_and_saveexec_b32 s0, vcc_lo
	s_cbranch_execz .LBB0_20
; %bb.18:
	ds_load_2addr_b64 v[4:7], v36 offset1:16
	ds_load_2addr_b64 v[8:11], v36 offset0:32 offset1:48
	ds_load_2addr_b64 v[12:15], v36 offset0:64 offset1:80
	;; [unrolled: 1-line block ×3, first 2 shown]
	v_add_co_u32 v2, vcc_lo, s8, v30
	s_wait_alu 0xfffd
	v_add_co_ci_u32_e32 v3, vcc_lo, s9, v31, vcc_lo
	s_delay_alu instid0(VALU_DEP_2) | instskip(SKIP_1) | instid1(VALU_DEP_2)
	v_add_co_u32 v0, vcc_lo, v2, v0
	s_wait_alu 0xfffd
	v_add_co_ci_u32_e32 v1, vcc_lo, v3, v1, vcc_lo
	v_cmp_eq_u32_e32 vcc_lo, 15, v28
	s_wait_dscnt 0x3
	s_clause 0x1
	global_store_b64 v[0:1], v[4:5], off
	global_store_b64 v[0:1], v[6:7], off offset:128
	s_wait_dscnt 0x2
	s_clause 0x1
	global_store_b64 v[0:1], v[8:9], off offset:256
	global_store_b64 v[0:1], v[10:11], off offset:384
	s_wait_dscnt 0x1
	s_clause 0x1
	global_store_b64 v[0:1], v[12:13], off offset:512
	;; [unrolled: 4-line block ×3, first 2 shown]
	global_store_b64 v[0:1], v[18:19], off offset:896
	s_and_b32 exec_lo, exec_lo, vcc_lo
	s_cbranch_execz .LBB0_20
; %bb.19:
	ds_load_b64 v[0:1], v36 offset:904
	s_wait_dscnt 0x0
	global_store_b64 v[2:3], v[0:1], off offset:1024
.LBB0_20:
	s_nop 0
	s_sendmsg sendmsg(MSG_DEALLOC_VGPRS)
	s_endpgm
	.section	.rodata,"a",@progbits
	.p2align	6, 0x0
	.amdhsa_kernel fft_rtc_back_len128_factors_16_8_wgs_256_tpt_16_halfLds_sp_ip_CI_unitstride_sbrr_R2C_dirReg
		.amdhsa_group_segment_fixed_size 0
		.amdhsa_private_segment_fixed_size 0
		.amdhsa_kernarg_size 88
		.amdhsa_user_sgpr_count 2
		.amdhsa_user_sgpr_dispatch_ptr 0
		.amdhsa_user_sgpr_queue_ptr 0
		.amdhsa_user_sgpr_kernarg_segment_ptr 1
		.amdhsa_user_sgpr_dispatch_id 0
		.amdhsa_user_sgpr_private_segment_size 0
		.amdhsa_wavefront_size32 1
		.amdhsa_uses_dynamic_stack 0
		.amdhsa_enable_private_segment 0
		.amdhsa_system_sgpr_workgroup_id_x 1
		.amdhsa_system_sgpr_workgroup_id_y 0
		.amdhsa_system_sgpr_workgroup_id_z 0
		.amdhsa_system_sgpr_workgroup_info 0
		.amdhsa_system_vgpr_workitem_id 0
		.amdhsa_next_free_vgpr 60
		.amdhsa_next_free_sgpr 32
		.amdhsa_reserve_vcc 1
		.amdhsa_float_round_mode_32 0
		.amdhsa_float_round_mode_16_64 0
		.amdhsa_float_denorm_mode_32 3
		.amdhsa_float_denorm_mode_16_64 3
		.amdhsa_fp16_overflow 0
		.amdhsa_workgroup_processor_mode 1
		.amdhsa_memory_ordered 1
		.amdhsa_forward_progress 0
		.amdhsa_round_robin_scheduling 0
		.amdhsa_exception_fp_ieee_invalid_op 0
		.amdhsa_exception_fp_denorm_src 0
		.amdhsa_exception_fp_ieee_div_zero 0
		.amdhsa_exception_fp_ieee_overflow 0
		.amdhsa_exception_fp_ieee_underflow 0
		.amdhsa_exception_fp_ieee_inexact 0
		.amdhsa_exception_int_div_zero 0
	.end_amdhsa_kernel
	.text
.Lfunc_end0:
	.size	fft_rtc_back_len128_factors_16_8_wgs_256_tpt_16_halfLds_sp_ip_CI_unitstride_sbrr_R2C_dirReg, .Lfunc_end0-fft_rtc_back_len128_factors_16_8_wgs_256_tpt_16_halfLds_sp_ip_CI_unitstride_sbrr_R2C_dirReg
                                        ; -- End function
	.section	.AMDGPU.csdata,"",@progbits
; Kernel info:
; codeLenInByte = 4656
; NumSgprs: 34
; NumVgprs: 60
; ScratchSize: 0
; MemoryBound: 0
; FloatMode: 240
; IeeeMode: 1
; LDSByteSize: 0 bytes/workgroup (compile time only)
; SGPRBlocks: 4
; VGPRBlocks: 7
; NumSGPRsForWavesPerEU: 34
; NumVGPRsForWavesPerEU: 60
; Occupancy: 16
; WaveLimiterHint : 1
; COMPUTE_PGM_RSRC2:SCRATCH_EN: 0
; COMPUTE_PGM_RSRC2:USER_SGPR: 2
; COMPUTE_PGM_RSRC2:TRAP_HANDLER: 0
; COMPUTE_PGM_RSRC2:TGID_X_EN: 1
; COMPUTE_PGM_RSRC2:TGID_Y_EN: 0
; COMPUTE_PGM_RSRC2:TGID_Z_EN: 0
; COMPUTE_PGM_RSRC2:TIDIG_COMP_CNT: 0
	.text
	.p2alignl 7, 3214868480
	.fill 96, 4, 3214868480
	.type	__hip_cuid_f928f67e27ef8bf0,@object ; @__hip_cuid_f928f67e27ef8bf0
	.section	.bss,"aw",@nobits
	.globl	__hip_cuid_f928f67e27ef8bf0
__hip_cuid_f928f67e27ef8bf0:
	.byte	0                               ; 0x0
	.size	__hip_cuid_f928f67e27ef8bf0, 1

	.ident	"AMD clang version 19.0.0git (https://github.com/RadeonOpenCompute/llvm-project roc-6.4.0 25133 c7fe45cf4b819c5991fe208aaa96edf142730f1d)"
	.section	".note.GNU-stack","",@progbits
	.addrsig
	.addrsig_sym __hip_cuid_f928f67e27ef8bf0
	.amdgpu_metadata
---
amdhsa.kernels:
  - .args:
      - .actual_access:  read_only
        .address_space:  global
        .offset:         0
        .size:           8
        .value_kind:     global_buffer
      - .offset:         8
        .size:           8
        .value_kind:     by_value
      - .actual_access:  read_only
        .address_space:  global
        .offset:         16
        .size:           8
        .value_kind:     global_buffer
      - .actual_access:  read_only
        .address_space:  global
        .offset:         24
        .size:           8
        .value_kind:     global_buffer
      - .offset:         32
        .size:           8
        .value_kind:     by_value
      - .actual_access:  read_only
        .address_space:  global
        .offset:         40
        .size:           8
        .value_kind:     global_buffer
      - .actual_access:  read_only
        .address_space:  global
        .offset:         48
        .size:           8
        .value_kind:     global_buffer
      - .offset:         56
        .size:           4
        .value_kind:     by_value
      - .actual_access:  read_only
        .address_space:  global
        .offset:         64
        .size:           8
        .value_kind:     global_buffer
      - .actual_access:  read_only
        .address_space:  global
        .offset:         72
        .size:           8
        .value_kind:     global_buffer
      - .address_space:  global
        .offset:         80
        .size:           8
        .value_kind:     global_buffer
    .group_segment_fixed_size: 0
    .kernarg_segment_align: 8
    .kernarg_segment_size: 88
    .language:       OpenCL C
    .language_version:
      - 2
      - 0
    .max_flat_workgroup_size: 256
    .name:           fft_rtc_back_len128_factors_16_8_wgs_256_tpt_16_halfLds_sp_ip_CI_unitstride_sbrr_R2C_dirReg
    .private_segment_fixed_size: 0
    .sgpr_count:     34
    .sgpr_spill_count: 0
    .symbol:         fft_rtc_back_len128_factors_16_8_wgs_256_tpt_16_halfLds_sp_ip_CI_unitstride_sbrr_R2C_dirReg.kd
    .uniform_work_group_size: 1
    .uses_dynamic_stack: false
    .vgpr_count:     60
    .vgpr_spill_count: 0
    .wavefront_size: 32
    .workgroup_processor_mode: 1
amdhsa.target:   amdgcn-amd-amdhsa--gfx1201
amdhsa.version:
  - 1
  - 2
...

	.end_amdgpu_metadata
